;; amdgpu-corpus repo=ROCm/rocFFT kind=compiled arch=gfx906 opt=O3
	.text
	.amdgcn_target "amdgcn-amd-amdhsa--gfx906"
	.amdhsa_code_object_version 6
	.protected	bluestein_single_fwd_len567_dim1_sp_op_CI_CI ; -- Begin function bluestein_single_fwd_len567_dim1_sp_op_CI_CI
	.globl	bluestein_single_fwd_len567_dim1_sp_op_CI_CI
	.p2align	8
	.type	bluestein_single_fwd_len567_dim1_sp_op_CI_CI,@function
bluestein_single_fwd_len567_dim1_sp_op_CI_CI: ; @bluestein_single_fwd_len567_dim1_sp_op_CI_CI
; %bb.0:
	s_load_dwordx4 s[8:11], s[4:5], 0x28
	v_mul_u32_u24_e32 v1, 0x411, v0
	v_add_u32_sdwa v68, s6, v1 dst_sel:DWORD dst_unused:UNUSED_PAD src0_sel:DWORD src1_sel:WORD_1
	v_mov_b32_e32 v69, 0
	s_waitcnt lgkmcnt(0)
	v_cmp_gt_u64_e32 vcc, s[8:9], v[68:69]
	s_and_saveexec_b64 s[0:1], vcc
	s_cbranch_execz .LBB0_15
; %bb.1:
	s_load_dwordx4 s[0:3], s[4:5], 0x18
	v_mov_b32_e32 v2, 63
	v_mul_lo_u16_sdwa v1, v1, v2 dst_sel:DWORD dst_unused:UNUSED_PAD src0_sel:WORD_1 src1_sel:DWORD
	v_sub_u16_e32 v84, v0, v1
	v_lshlrev_b32_e32 v83, 3, v84
	s_waitcnt lgkmcnt(0)
	s_load_dwordx4 s[12:15], s[0:1], 0x0
	s_load_dwordx2 s[6:7], s[4:5], 0x38
	s_waitcnt lgkmcnt(0)
	v_mad_u64_u32 v[0:1], s[0:1], s14, v68, 0
	v_mad_u64_u32 v[2:3], s[0:1], s12, v84, 0
	;; [unrolled: 1-line block ×3, first 2 shown]
	s_load_dwordx2 s[14:15], s[4:5], 0x0
	v_mad_u64_u32 v[5:6], s[0:1], s13, v84, v[3:4]
	v_mov_b32_e32 v1, v4
	v_lshlrev_b64 v[0:1], 3, v[0:1]
	v_mov_b32_e32 v6, s11
	v_mov_b32_e32 v3, v5
	v_add_co_u32_e32 v4, vcc, s10, v0
	v_addc_co_u32_e32 v5, vcc, v6, v1, vcc
	v_lshlrev_b64 v[0:1], 3, v[2:3]
	s_mul_i32 s0, s13, 0x51
	s_mul_hi_u32 s1, s12, 0x51
	v_add_co_u32_e32 v0, vcc, v4, v0
	s_add_i32 s1, s1, s0
	s_mul_i32 s0, s12, 0x51
	v_addc_co_u32_e32 v1, vcc, v5, v1, vcc
	s_lshl_b64 s[16:17], s[0:1], 3
	global_load_dwordx2 v[3:4], v[0:1], off
	v_mov_b32_e32 v2, s17
	v_add_co_u32_e32 v0, vcc, s16, v0
	v_addc_co_u32_e32 v1, vcc, v1, v2, vcc
	v_add_co_u32_e32 v5, vcc, s16, v0
	v_addc_co_u32_e32 v6, vcc, v1, v2, vcc
	;; [unrolled: 2-line block ×3, first 2 shown]
	s_waitcnt lgkmcnt(0)
	global_load_dwordx2 v[77:78], v83, s[14:15]
	global_load_dwordx2 v[75:76], v83, s[14:15] offset:648
	global_load_dwordx2 v[9:10], v[0:1], off
	global_load_dwordx2 v[11:12], v[5:6], off
	;; [unrolled: 1-line block ×3, first 2 shown]
	global_load_dwordx2 v[73:74], v83, s[14:15] offset:1296
	global_load_dwordx2 v[71:72], v83, s[14:15] offset:1944
	v_add_co_u32_e32 v0, vcc, s16, v7
	v_addc_co_u32_e32 v1, vcc, v8, v2, vcc
	global_load_dwordx2 v[5:6], v[0:1], off
	global_load_dwordx2 v[69:70], v83, s[14:15] offset:2592
	v_add_co_u32_e32 v0, vcc, s16, v0
	v_addc_co_u32_e32 v1, vcc, v1, v2, vcc
	global_load_dwordx2 v[7:8], v[0:1], off
	global_load_dwordx2 v[66:67], v83, s[14:15] offset:3240
	v_add_co_u32_e32 v0, vcc, s16, v0
	v_addc_co_u32_e32 v1, vcc, v1, v2, vcc
	global_load_dwordx2 v[64:65], v83, s[14:15] offset:3888
	global_load_dwordx2 v[15:16], v[0:1], off
	s_load_dwordx4 s[8:11], s[2:3], 0x0
	v_mov_b32_e32 v17, s15
	v_add_co_u32_e64 v62, s[2:3], s14, v83
	v_addc_co_u32_e64 v63, vcc, 0, v17, s[2:3]
	v_add_u32_e32 v2, 0x800, v83
	v_cmp_gt_u16_e64 s[0:1], 18, v84
	s_waitcnt vmcnt(12)
	v_mul_f32_e32 v17, v4, v78
	v_mul_f32_e32 v18, v3, v78
	v_fmac_f32_e32 v17, v3, v77
	v_fma_f32 v18, v4, v77, -v18
	s_waitcnt vmcnt(10)
	v_mul_f32_e32 v3, v10, v76
	v_mul_f32_e32 v4, v9, v76
	v_fmac_f32_e32 v3, v9, v75
	v_fma_f32 v4, v10, v75, -v4
	s_waitcnt vmcnt(7)
	v_mul_f32_e32 v9, v12, v74
	v_mul_f32_e32 v10, v11, v74
	ds_write2_b64 v83, v[17:18], v[3:4] offset1:81
	s_waitcnt vmcnt(6)
	v_mul_f32_e32 v3, v14, v72
	v_mul_f32_e32 v4, v13, v72
	v_fmac_f32_e32 v9, v11, v73
	v_fma_f32 v10, v12, v73, -v10
	v_fmac_f32_e32 v3, v13, v71
	v_fma_f32 v4, v14, v71, -v4
	s_waitcnt vmcnt(4)
	v_mul_f32_e32 v11, v6, v70
	v_mul_f32_e32 v12, v5, v70
	ds_write2_b64 v83, v[9:10], v[3:4] offset0:162 offset1:243
	v_fmac_f32_e32 v11, v5, v69
	v_fma_f32 v12, v6, v69, -v12
	s_waitcnt vmcnt(2)
	v_mul_f32_e32 v3, v8, v67
	v_mul_f32_e32 v4, v7, v67
	s_waitcnt vmcnt(0)
	v_mul_f32_e32 v5, v16, v65
	v_mul_f32_e32 v6, v15, v65
	v_fmac_f32_e32 v3, v7, v66
	v_fma_f32 v4, v8, v66, -v4
	v_fmac_f32_e32 v5, v15, v64
	v_fma_f32 v6, v16, v64, -v6
	ds_write2_b64 v2, v[11:12], v[3:4] offset0:68 offset1:149
	ds_write_b64 v83, v[5:6] offset:3888
	s_and_saveexec_b64 s[18:19], s[0:1]
	s_cbranch_execz .LBB0_3
; %bb.2:
	v_mov_b32_e32 v3, 0xfffff2c8
	v_mad_u64_u32 v[0:1], s[20:21], s12, v3, v[0:1]
	s_mulk_i32 s13, 0xf2c8
	s_sub_i32 s12, s13, s12
	v_add_u32_e32 v1, s12, v1
	global_load_dwordx2 v[3:4], v[0:1], off
	v_mov_b32_e32 v27, s17
	v_add_co_u32_e32 v0, vcc, s16, v0
	v_addc_co_u32_e32 v1, vcc, v1, v27, vcc
	global_load_dwordx2 v[5:6], v[0:1], off
	v_add_co_u32_e32 v0, vcc, s16, v0
	v_addc_co_u32_e32 v1, vcc, v1, v27, vcc
	global_load_dwordx2 v[7:8], v[0:1], off
	;; [unrolled: 3-line block ×3, first 2 shown]
	global_load_dwordx2 v[11:12], v[62:63], off offset:504
	global_load_dwordx2 v[13:14], v[62:63], off offset:1152
	;; [unrolled: 1-line block ×4, first 2 shown]
	v_add_co_u32_e32 v0, vcc, s16, v0
	v_addc_co_u32_e32 v1, vcc, v1, v27, vcc
	global_load_dwordx2 v[19:20], v[0:1], off
	v_add_co_u32_e32 v0, vcc, s16, v0
	v_addc_co_u32_e32 v1, vcc, v1, v27, vcc
	global_load_dwordx2 v[21:22], v[0:1], off
	global_load_dwordx2 v[23:24], v[62:63], off offset:3096
	global_load_dwordx2 v[25:26], v[62:63], off offset:3744
	v_add_co_u32_e32 v0, vcc, s16, v0
	v_addc_co_u32_e32 v1, vcc, v1, v27, vcc
	v_add_co_u32_e32 v27, vcc, 0x1000, v62
	v_addc_co_u32_e32 v28, vcc, 0, v63, vcc
	global_load_dwordx2 v[29:30], v[27:28], off offset:296
	global_load_dwordx2 v[31:32], v[0:1], off
	v_add_u32_e32 v27, 0x400, v83
	s_waitcnt vmcnt(9)
	v_mul_f32_e32 v0, v4, v12
	v_mul_f32_e32 v1, v3, v12
	v_fmac_f32_e32 v0, v3, v11
	v_fma_f32 v1, v4, v11, -v1
	s_waitcnt vmcnt(8)
	v_mul_f32_e32 v3, v6, v14
	v_mul_f32_e32 v4, v5, v14
	v_fmac_f32_e32 v3, v5, v13
	v_fma_f32 v4, v6, v13, -v4
	s_waitcnt vmcnt(7)
	v_mul_f32_e32 v5, v8, v16
	v_mul_f32_e32 v6, v7, v16
	ds_write2_b64 v83, v[0:1], v[3:4] offset0:63 offset1:144
	s_waitcnt vmcnt(6)
	v_mul_f32_e32 v0, v10, v18
	v_mul_f32_e32 v1, v9, v18
	v_fmac_f32_e32 v5, v7, v15
	v_fma_f32 v6, v8, v15, -v6
	v_fmac_f32_e32 v0, v9, v17
	v_fma_f32 v1, v10, v17, -v1
	s_waitcnt vmcnt(3)
	v_mul_f32_e32 v3, v20, v24
	v_mul_f32_e32 v4, v19, v24
	ds_write2_b64 v27, v[5:6], v[0:1] offset0:97 offset1:178
	s_waitcnt vmcnt(2)
	v_mul_f32_e32 v0, v22, v26
	v_mul_f32_e32 v1, v21, v26
	s_waitcnt vmcnt(0)
	v_mul_f32_e32 v5, v32, v30
	v_mul_f32_e32 v6, v31, v30
	v_fmac_f32_e32 v3, v19, v23
	v_fma_f32 v4, v20, v23, -v4
	v_fmac_f32_e32 v0, v21, v25
	v_fma_f32 v1, v22, v25, -v1
	;; [unrolled: 2-line block ×3, first 2 shown]
	ds_write2_b64 v2, v[3:4], v[0:1] offset0:131 offset1:212
	ds_write_b64 v83, v[5:6] offset:4392
.LBB0_3:
	s_or_b64 exec, exec, s[18:19]
	s_waitcnt lgkmcnt(0)
	; wave barrier
	s_waitcnt lgkmcnt(0)
	ds_read2_b64 v[12:15], v83 offset1:81
	ds_read2_b64 v[16:19], v83 offset0:162 offset1:243
	ds_read2_b64 v[20:23], v2 offset0:68 offset1:149
	ds_read_b64 v[26:27], v83 offset:3888
	s_load_dwordx2 s[4:5], s[4:5], 0x8
	v_mov_b32_e32 v2, 0
	v_mov_b32_e32 v3, 0
	;; [unrolled: 1-line block ×8, first 2 shown]
                                        ; implicit-def: $vgpr24
	s_and_saveexec_b64 s[12:13], s[0:1]
	s_cbranch_execz .LBB0_5
; %bb.4:
	v_add_u32_e32 v4, 0x400, v83
	v_add_u32_e32 v8, 0x800, v83
	ds_read2_b64 v[0:3], v83 offset0:63 offset1:144
	ds_read2_b64 v[4:7], v4 offset0:97 offset1:178
	;; [unrolled: 1-line block ×3, first 2 shown]
	ds_read_b64 v[24:25], v83 offset:4392
.LBB0_5:
	s_or_b64 exec, exec, s[12:13]
	s_waitcnt lgkmcnt(0)
	v_add_f32_e32 v28, v14, v26
	v_sub_f32_e32 v14, v14, v26
	v_add_f32_e32 v26, v16, v22
	v_add_f32_e32 v29, v15, v27
	v_sub_f32_e32 v15, v15, v27
	v_add_f32_e32 v27, v17, v23
	v_sub_f32_e32 v16, v16, v22
	;; [unrolled: 2-line block ×5, first 2 shown]
	v_add_f32_e32 v21, v27, v29
	v_add_f32_e32 v20, v22, v20
	v_sub_f32_e32 v34, v18, v16
	v_sub_f32_e32 v35, v19, v17
	v_add_f32_e32 v21, v23, v21
	v_add_f32_e32 v12, v12, v20
	v_sub_f32_e32 v30, v26, v28
	v_sub_f32_e32 v31, v27, v29
	;; [unrolled: 1-line block ×6, first 2 shown]
	v_add_f32_e32 v32, v18, v16
	v_sub_f32_e32 v16, v16, v14
	v_add_f32_e32 v13, v13, v21
	v_mul_f32_e32 v37, 0xbf08b237, v34
	v_mul_f32_e32 v34, 0xbf08b237, v35
	v_mov_b32_e32 v35, v12
	v_add_f32_e32 v33, v19, v17
	v_sub_f32_e32 v18, v14, v18
	v_sub_f32_e32 v17, v17, v15
	v_add_f32_e32 v14, v32, v14
	v_mul_f32_e32 v22, 0x3f4a47b2, v28
	v_mul_f32_e32 v23, 0x3f4a47b2, v29
	;; [unrolled: 1-line block ×4, first 2 shown]
	s_mov_b32 s12, 0x3f5ff5aa
	v_mul_f32_e32 v32, 0x3f5ff5aa, v16
	v_fmac_f32_e32 v35, 0xbf955555, v20
	v_mov_b32_e32 v20, v13
	s_mov_b32 s13, 0x3f3bfb3b
	s_mov_b32 s14, 0xbf3bfb3b
	;; [unrolled: 1-line block ×3, first 2 shown]
	v_sub_f32_e32 v19, v15, v19
	v_add_f32_e32 v15, v33, v15
	v_mul_f32_e32 v33, 0x3f5ff5aa, v17
	v_fmac_f32_e32 v20, 0xbf955555, v21
	v_fma_f32 v21, v30, s13, -v28
	v_fma_f32 v28, v31, s13, -v29
	;; [unrolled: 1-line block ×3, first 2 shown]
	v_fmac_f32_e32 v22, 0x3d64c772, v26
	v_fma_f32 v26, v31, s14, -v23
	v_fmac_f32_e32 v23, 0x3d64c772, v27
	v_fma_f32 v16, v16, s12, -v37
	;; [unrolled: 2-line block ×3, first 2 shown]
	v_fma_f32 v17, v17, s12, -v34
	v_fmac_f32_e32 v34, 0x3eae86e6, v19
	v_fma_f32 v19, v19, s16, -v33
	v_add_f32_e32 v23, v23, v20
	v_add_f32_e32 v31, v28, v20
	;; [unrolled: 1-line block ×3, first 2 shown]
	v_fmac_f32_e32 v16, 0x3ee1c552, v14
	v_fmac_f32_e32 v18, 0x3ee1c552, v14
	v_add_f32_e32 v21, v21, v35
	v_add_f32_e32 v32, v29, v35
	v_fmac_f32_e32 v17, 0x3ee1c552, v15
	v_fmac_f32_e32 v19, 0x3ee1c552, v15
	v_sub_f32_e32 v27, v20, v18
	v_add_f32_e32 v29, v16, v31
	v_sub_f32_e32 v31, v31, v16
	v_add_f32_e32 v33, v18, v20
	v_add_f32_e32 v16, v24, v2
	;; [unrolled: 1-line block ×4, first 2 shown]
	v_sub_f32_e32 v28, v21, v17
	v_add_f32_e32 v30, v17, v21
	v_sub_f32_e32 v32, v32, v19
	v_add_f32_e32 v17, v25, v3
	v_add_f32_e32 v19, v11, v5
	v_sub_f32_e32 v4, v4, v10
	v_add_f32_e32 v10, v6, v8
	v_sub_f32_e32 v6, v8, v6
	;; [unrolled: 2-line block ×4, first 2 shown]
	v_add_f32_e32 v9, v17, v19
	v_add_f32_e32 v8, v8, v10
	;; [unrolled: 1-line block ×3, first 2 shown]
	v_fmac_f32_e32 v37, 0x3ee1c552, v14
	v_fmac_f32_e32 v34, 0x3ee1c552, v15
	v_sub_f32_e32 v2, v2, v24
	v_add_f32_e32 v9, v9, v11
	v_add_f32_e32 v0, v8, v0
	;; [unrolled: 1-line block ×3, first 2 shown]
	v_sub_f32_e32 v15, v23, v37
	v_sub_f32_e32 v34, v22, v34
	v_add_f32_e32 v35, v37, v23
	v_sub_f32_e32 v3, v3, v25
	v_sub_f32_e32 v20, v18, v16
	;; [unrolled: 1-line block ×7, first 2 shown]
	v_add_f32_e32 v22, v4, v6
	v_add_f32_e32 v23, v5, v7
	v_sub_f32_e32 v24, v6, v4
	v_sub_f32_e32 v4, v4, v2
	v_add_f32_e32 v1, v9, v1
	v_mov_b32_e32 v37, v0
	v_sub_f32_e32 v25, v7, v5
	v_sub_f32_e32 v6, v2, v6
	;; [unrolled: 1-line block ×3, first 2 shown]
	v_add_f32_e32 v10, v2, v22
	v_add_f32_e32 v11, v3, v23
	v_mul_f32_e32 v22, 0x3f4a47b2, v16
	v_mul_f32_e32 v23, 0x3f4a47b2, v17
	v_mul_f32_e32 v18, 0x3d64c772, v18
	v_mul_f32_e32 v19, 0x3d64c772, v19
	v_mul_f32_e32 v2, 0xbf08b237, v24
	v_mul_f32_e32 v24, 0x3f5ff5aa, v4
	v_fmac_f32_e32 v37, 0xbf955555, v8
	v_mov_b32_e32 v8, v1
	v_sub_f32_e32 v7, v3, v7
	v_mul_f32_e32 v3, 0xbf08b237, v25
	v_mul_f32_e32 v25, 0x3f5ff5aa, v5
	v_fmac_f32_e32 v8, 0xbf955555, v9
	v_fma_f32 v9, v20, s13, -v18
	v_fmac_f32_e32 v18, 0x3f4a47b2, v16
	v_fma_f32 v16, v21, s13, -v19
	;; [unrolled: 2-line block ×3, first 2 shown]
	v_fma_f32 v20, v21, s14, -v23
	v_fma_f32 v21, v4, s12, -v2
	v_fmac_f32_e32 v2, 0x3eae86e6, v6
	v_fma_f32 v6, v6, s16, -v24
	v_fma_f32 v22, v5, s12, -v3
	v_fmac_f32_e32 v3, 0x3eae86e6, v7
	v_fma_f32 v7, v7, s16, -v25
	v_add_f32_e32 v5, v19, v8
	v_add_f32_e32 v23, v16, v8
	;; [unrolled: 1-line block ×3, first 2 shown]
	v_fmac_f32_e32 v21, 0x3ee1c552, v10
	v_fmac_f32_e32 v6, 0x3ee1c552, v10
	v_add_co_u32_e32 v36, vcc, 63, v84
	v_add_f32_e32 v4, v18, v37
	v_add_f32_e32 v9, v9, v37
	;; [unrolled: 1-line block ×3, first 2 shown]
	v_fmac_f32_e32 v2, 0x3ee1c552, v10
	v_fmac_f32_e32 v3, 0x3ee1c552, v11
	;; [unrolled: 1-line block ×4, first 2 shown]
	v_sub_f32_e32 v17, v8, v6
	v_add_f32_e32 v19, v21, v23
	v_sub_f32_e32 v21, v23, v21
	v_add_f32_e32 v23, v6, v8
	v_mul_lo_u16_e32 v6, 7, v84
	v_add_f32_e32 v16, v24, v7
	v_sub_f32_e32 v18, v9, v22
	v_add_f32_e32 v20, v9, v22
	v_sub_f32_e32 v22, v24, v7
	v_sub_f32_e32 v79, v4, v3
	v_add_f32_e32 v80, v2, v5
	v_lshlrev_b32_e32 v86, 3, v6
	v_mul_u32_u24_e32 v85, 7, v36
	s_waitcnt lgkmcnt(0)
	; wave barrier
	ds_write2_b64 v86, v[12:13], v[14:15] offset1:1
	ds_write2_b64 v86, v[26:27], v[28:29] offset0:2 offset1:3
	ds_write2_b64 v86, v[30:31], v[32:33] offset0:4 offset1:5
	ds_write_b64 v86, v[34:35] offset:48
	s_and_saveexec_b64 s[12:13], s[0:1]
	s_cbranch_execz .LBB0_7
; %bb.6:
	v_sub_f32_e32 v5, v5, v2
	v_add_f32_e32 v4, v4, v3
	v_lshlrev_b32_e32 v2, 3, v85
	ds_write2_b64 v2, v[0:1], v[4:5] offset1:1
	ds_write2_b64 v2, v[16:17], v[18:19] offset0:2 offset1:3
	ds_write2_b64 v2, v[20:21], v[22:23] offset0:4 offset1:5
	ds_write_b64 v2, v[79:80] offset:48
.LBB0_7:
	s_or_b64 exec, exec, s[12:13]
	v_mov_b32_e32 v0, 37
	v_mul_lo_u16_sdwa v0, v84, v0 dst_sel:DWORD dst_unused:UNUSED_PAD src0_sel:BYTE_0 src1_sel:DWORD
	v_sub_u16_sdwa v1, v84, v0 dst_sel:DWORD dst_unused:UNUSED_PAD src0_sel:DWORD src1_sel:BYTE_1
	v_lshrrev_b16_e32 v1, 1, v1
	v_and_b32_e32 v1, 0x7f, v1
	v_add_u16_sdwa v0, v1, v0 dst_sel:DWORD dst_unused:UNUSED_PAD src0_sel:DWORD src1_sel:BYTE_1
	v_lshrrev_b16_e32 v43, 2, v0
	v_mul_lo_u16_e32 v0, 7, v43
	v_sub_u16_e32 v0, v84, v0
	v_and_b32_e32 v44, 0xff, v0
	v_lshlrev_b32_e32 v24, 6, v44
	s_waitcnt lgkmcnt(0)
	; wave barrier
	s_waitcnt lgkmcnt(0)
	global_load_dwordx4 v[12:15], v24, s[4:5]
	global_load_dwordx4 v[8:11], v24, s[4:5] offset:16
	global_load_dwordx4 v[4:7], v24, s[4:5] offset:32
	;; [unrolled: 1-line block ×3, first 2 shown]
	ds_read2_b64 v[24:27], v83 offset1:63
	ds_read2_b64 v[28:31], v83 offset0:126 offset1:189
	v_add_u32_e32 v50, 0x400, v83
	v_add_u32_e32 v58, 0x800, v83
	ds_read_b64 v[41:42], v83 offset:4032
	ds_read2_b64 v[32:35], v50 offset0:124 offset1:187
	ds_read2_b64 v[37:40], v58 offset0:122 offset1:185
	s_waitcnt lgkmcnt(4)
	v_mov_b32_e32 v45, v24
	v_mov_b32_e32 v46, v25
	s_mov_b32 s12, 0xbf248dbb
	v_mul_u32_u24_e32 v43, 63, v43
	s_waitcnt lgkmcnt(0)
	; wave barrier
	s_waitcnt lgkmcnt(0)
	v_lshlrev_b32_e32 v36, 4, v36
	s_waitcnt vmcnt(3)
	v_mul_f32_e32 v47, v27, v13
	v_mul_f32_e32 v48, v26, v13
	s_waitcnt vmcnt(2)
	v_mul_f32_e32 v53, v30, v9
	s_waitcnt vmcnt(0)
	v_mul_f32_e32 v82, v42, v3
	v_mul_f32_e32 v87, v41, v3
	v_mul_f32_e32 v49, v29, v15
	v_mul_f32_e32 v51, v28, v15
	v_mul_f32_e32 v52, v31, v9
	v_mul_f32_e32 v61, v40, v1
	v_mul_f32_e32 v81, v39, v1
	v_fmac_f32_e32 v53, v31, v8
	v_fma_f32 v26, v26, v12, -v47
	v_fmac_f32_e32 v48, v27, v12
	v_fma_f32 v31, v41, v2, -v82
	v_fmac_f32_e32 v87, v42, v2
	v_mul_f32_e32 v54, v33, v11
	v_mul_f32_e32 v59, v38, v7
	;; [unrolled: 1-line block ×3, first 2 shown]
	v_fma_f32 v28, v28, v14, -v49
	v_fmac_f32_e32 v51, v29, v14
	v_fma_f32 v29, v30, v8, -v52
	v_fma_f32 v30, v39, v0, -v61
	v_fmac_f32_e32 v81, v40, v0
	v_add_f32_e32 v41, v26, v31
	v_sub_f32_e32 v40, v48, v87
	v_mul_f32_e32 v55, v32, v11
	v_mul_f32_e32 v56, v35, v5
	;; [unrolled: 1-line block ×3, first 2 shown]
	v_fma_f32 v47, v32, v10, -v54
	v_fma_f32 v27, v37, v6, -v59
	v_fmac_f32_e32 v60, v38, v6
	v_add_f32_e32 v42, v48, v87
	v_add_f32_e32 v52, v28, v30
	v_add_f32_e32 v54, v51, v81
	v_sub_f32_e32 v39, v26, v31
	v_sub_f32_e32 v48, v28, v30
	;; [unrolled: 1-line block ×3, first 2 shown]
	v_mul_f32_e32 v28, 0x3f248dbb, v40
	v_fmac_f32_e32 v45, 0x3f441b7d, v41
	v_fmac_f32_e32 v55, v33, v10
	v_fma_f32 v49, v34, v4, -v56
	v_fmac_f32_e32 v57, v35, v4
	v_add_f32_e32 v56, v29, v27
	v_add_f32_e32 v59, v53, v60
	v_sub_f32_e32 v61, v29, v27
	v_sub_f32_e32 v53, v53, v60
	v_mul_f32_e32 v29, 0x3f248dbb, v39
	v_fmac_f32_e32 v46, 0x3f441b7d, v42
	v_fmac_f32_e32 v28, 0x3f7c1c5c, v51
	;; [unrolled: 1-line block ×3, first 2 shown]
	v_sub_f32_e32 v81, v55, v57
	v_add_f32_e32 v82, v47, v49
	v_fmac_f32_e32 v29, 0x3f7c1c5c, v48
	v_fmac_f32_e32 v46, 0x3e31d0d4, v54
	;; [unrolled: 1-line block ×3, first 2 shown]
	v_fmac_f32_e32 v45, -0.5, v56
	v_sub_f32_e32 v60, v47, v49
	v_add_f32_e32 v87, v55, v57
	v_fmac_f32_e32 v29, 0x3f5db3d7, v61
	v_fmac_f32_e32 v46, -0.5, v59
	v_fmac_f32_e32 v28, 0x3eaf1d44, v81
	v_fmac_f32_e32 v45, 0xbf708fb2, v82
	;; [unrolled: 1-line block ×4, first 2 shown]
	v_add_f32_e32 v26, v28, v45
	v_add_f32_e32 v45, v52, v41
	v_mul_f32_e32 v33, 0xbf248dbb, v60
	v_sub_f32_e32 v27, v46, v29
	v_add_f32_e32 v34, v56, v24
	v_add_f32_e32 v35, v82, v45
	;; [unrolled: 1-line block ×3, first 2 shown]
	v_mul_f32_e32 v32, 0xbf248dbb, v81
	v_fmac_f32_e32 v33, 0x3f7c1c5c, v39
	v_fmac_f32_e32 v34, -0.5, v35
	v_add_f32_e32 v35, v59, v25
	v_add_f32_e32 v37, v87, v46
	v_fmac_f32_e32 v32, 0x3f7c1c5c, v40
	v_fmac_f32_e32 v33, 0xbf5db3d7, v61
	v_fmac_f32_e32 v35, -0.5, v37
	v_add_f32_e32 v37, v60, v39
	v_mul_f32_e32 v60, 0x3f7c1c5c, v60
	v_fmac_f32_e32 v32, 0xbf5db3d7, v53
	v_fmac_f32_e32 v33, 0x3eaf1d44, v48
	v_sub_f32_e32 v37, v37, v48
	v_add_f32_e32 v38, v81, v40
	v_fma_f32 v48, v48, s12, -v60
	v_mul_f32_e32 v60, 0x3f7c1c5c, v81
	v_fmac_f32_e32 v32, 0x3eaf1d44, v51
	v_sub_f32_e32 v38, v38, v51
	v_fma_f32 v51, v51, s12, -v60
	v_fmac_f32_e32 v48, 0x3f5db3d7, v61
	v_fmac_f32_e32 v51, 0x3f5db3d7, v53
	;; [unrolled: 1-line block ×4, first 2 shown]
	v_add_f32_e32 v39, v56, v45
	v_add_f32_e32 v40, v59, v46
	;; [unrolled: 1-line block ×4, first 2 shown]
	v_mov_b32_e32 v30, v24
	v_mov_b32_e32 v31, v25
	v_add_f32_e32 v39, v49, v39
	v_add_f32_e32 v40, v57, v40
	v_fmac_f32_e32 v30, 0x3f441b7d, v82
	v_fmac_f32_e32 v31, 0x3f441b7d, v87
	v_add_f32_e32 v39, v39, v24
	v_add_f32_e32 v40, v40, v25
	v_fmac_f32_e32 v24, 0x3f441b7d, v52
	v_fmac_f32_e32 v25, 0x3f441b7d, v54
	;; [unrolled: 1-line block ×6, first 2 shown]
	v_fmac_f32_e32 v30, -0.5, v56
	v_fmac_f32_e32 v31, -0.5, v59
	;; [unrolled: 1-line block ×4, first 2 shown]
	v_fmac_f32_e32 v30, 0xbf708fb2, v52
	v_fmac_f32_e32 v31, 0xbf708fb2, v54
	;; [unrolled: 1-line block ×4, first 2 shown]
	v_fma_f32 v28, -2.0, v28, v26
	v_add_f32_e32 v30, v32, v30
	v_sub_f32_e32 v31, v31, v33
	v_fmac_f32_e32 v35, 0xbf5db3d7, v37
	v_mul_f32_e32 v88, 0x3f5db3d7, v37
	v_fmac_f32_e32 v34, 0x3f5db3d7, v38
	v_mul_f32_e32 v37, 0x3f5db3d7, v38
	v_add_f32_e32 v24, v51, v24
	v_sub_f32_e32 v25, v25, v48
	v_add_lshl_u32 v87, v43, v44, 3
	v_fma_f32 v29, 2.0, v29, v27
	v_fma_f32 v32, -2.0, v32, v30
	v_fma_f32 v33, 2.0, v33, v31
	v_fma_f32 v37, -2.0, v37, v34
	;; [unrolled: 2-line block ×3, first 2 shown]
	v_fma_f32 v42, 2.0, v48, v25
	ds_write2_b64 v87, v[39:40], v[26:27] offset1:7
	ds_write2_b64 v87, v[30:31], v[34:35] offset0:14 offset1:21
	ds_write2_b64 v87, v[24:25], v[41:42] offset0:28 offset1:35
	ds_write2_b64 v87, v[37:38], v[32:33] offset0:42 offset1:49
	ds_write_b64 v87, v[28:29] offset:448
	v_add_co_u32_e32 v53, vcc, 0x7e, v84
	v_mov_b32_e32 v28, 5
	v_mul_lo_u16_sdwa v28, v53, v28 dst_sel:DWORD dst_unused:UNUSED_PAD src0_sel:BYTE_0 src1_sel:DWORD
	v_sub_u16_sdwa v29, v53, v28 dst_sel:DWORD dst_unused:UNUSED_PAD src0_sel:DWORD src1_sel:BYTE_1
	v_lshrrev_b16_e32 v29, 1, v29
	v_and_b32_e32 v29, 0x7f, v29
	v_lshlrev_b32_e32 v49, 4, v84
	v_add_u16_sdwa v28, v29, v28 dst_sel:DWORD dst_unused:UNUSED_PAD src0_sel:DWORD src1_sel:BYTE_1
	s_waitcnt lgkmcnt(0)
	; wave barrier
	s_waitcnt lgkmcnt(0)
	global_load_dwordx4 v[24:27], v49, s[4:5] offset:448
	v_lshrrev_b16_e32 v28, 5, v28
	v_mul_lo_u16_e32 v28, 63, v28
	v_sub_u16_e32 v54, v53, v28
	v_mov_b32_e32 v28, 4
	v_lshlrev_b32_sdwa v28, v28, v54 dst_sel:DWORD dst_unused:UNUSED_PAD src0_sel:DWORD src1_sel:BYTE_0
	global_load_dwordx4 v[28:31], v28, s[4:5] offset:448
	ds_read2_b64 v[32:35], v83 offset0:126 offset1:189
	ds_read2_b64 v[37:40], v83 offset1:63
	ds_read2_b64 v[41:44], v58 offset0:122 offset1:185
	ds_read2_b64 v[45:48], v50 offset0:124 offset1:187
	ds_read_b64 v[51:52], v83 offset:4032
	s_waitcnt lgkmcnt(0)
	; wave barrier
	s_waitcnt vmcnt(1) lgkmcnt(0)
	v_mul_f32_e32 v55, v35, v25
	v_fma_f32 v55, v34, v24, -v55
	v_mul_f32_e32 v56, v34, v25
	v_mul_f32_e32 v34, v42, v27
	v_fma_f32 v57, v41, v26, -v34
	v_mul_f32_e32 v34, v46, v25
	v_fma_f32 v59, v45, v24, -v34
	;; [unrolled: 2-line block ×3, first 2 shown]
	s_waitcnt vmcnt(0)
	v_mul_f32_e32 v34, v48, v29
	v_fma_f32 v82, v47, v28, -v34
	v_mul_f32_e32 v88, v47, v29
	v_mul_f32_e32 v34, v52, v31
	v_fmac_f32_e32 v88, v48, v28
	v_fma_f32 v48, v51, v30, -v34
	v_add_f32_e32 v34, v55, v57
	v_fmac_f32_e32 v56, v35, v24
	v_mul_f32_e32 v35, v41, v27
	v_fma_f32 v34, -0.5, v34, v37
	v_add_f32_e32 v37, v37, v55
	v_fmac_f32_e32 v35, v42, v26
	v_mul_f32_e32 v61, v43, v27
	v_add_f32_e32 v43, v37, v57
	v_add_f32_e32 v37, v38, v56
	v_fmac_f32_e32 v61, v44, v26
	v_sub_f32_e32 v42, v56, v35
	v_add_f32_e32 v44, v37, v35
	v_add_f32_e32 v35, v56, v35
	v_mov_b32_e32 v41, v34
	v_fma_f32 v35, -0.5, v35, v38
	v_fmac_f32_e32 v41, 0x3f5db3d7, v42
	v_fmac_f32_e32 v34, 0xbf5db3d7, v42
	v_sub_f32_e32 v37, v55, v57
	v_mov_b32_e32 v42, v35
	v_mul_f32_e32 v81, v45, v25
	v_fmac_f32_e32 v42, 0xbf5db3d7, v37
	v_fmac_f32_e32 v35, 0x3f5db3d7, v37
	v_add_f32_e32 v37, v59, v60
	v_fmac_f32_e32 v81, v46, v24
	v_add_f32_e32 v38, v39, v59
	v_fma_f32 v39, -0.5, v37, v39
	v_sub_f32_e32 v45, v81, v61
	v_mov_b32_e32 v37, v39
	v_fmac_f32_e32 v37, 0x3f5db3d7, v45
	v_fmac_f32_e32 v39, 0xbf5db3d7, v45
	v_add_f32_e32 v45, v38, v60
	v_add_f32_e32 v38, v40, v81
	v_add_f32_e32 v46, v38, v61
	v_add_f32_e32 v38, v81, v61
	v_fmac_f32_e32 v40, -0.5, v38
	v_sub_f32_e32 v47, v59, v60
	v_mov_b32_e32 v38, v40
	v_mul_f32_e32 v89, v51, v31
	v_fmac_f32_e32 v38, 0xbf5db3d7, v47
	v_fmac_f32_e32 v40, 0x3f5db3d7, v47
	v_add_f32_e32 v47, v82, v48
	v_fmac_f32_e32 v89, v52, v30
	v_add_f32_e32 v51, v32, v82
	v_fma_f32 v32, -0.5, v47, v32
	v_sub_f32_e32 v52, v88, v89
	v_mov_b32_e32 v47, v32
	v_add_f32_e32 v55, v88, v89
	v_fmac_f32_e32 v47, 0x3f5db3d7, v52
	v_fmac_f32_e32 v32, 0xbf5db3d7, v52
	v_add_f32_e32 v52, v33, v88
	v_fmac_f32_e32 v33, -0.5, v55
	ds_write2_b64 v83, v[43:44], v[41:42] offset1:63
	ds_write2_b64 v83, v[34:35], v[45:46] offset0:126 offset1:189
	ds_write2_b64 v50, v[37:38], v[39:40] offset0:124 offset1:187
	v_mov_b32_e32 v34, 3
	v_add_f32_e32 v51, v51, v48
	v_sub_f32_e32 v55, v82, v48
	v_mov_b32_e32 v48, v33
	v_lshlrev_b32_sdwa v88, v34, v54 dst_sel:DWORD dst_unused:UNUSED_PAD src0_sel:DWORD src1_sel:BYTE_0
	v_add_f32_e32 v52, v52, v89
	v_fmac_f32_e32 v48, 0xbf5db3d7, v55
	v_fmac_f32_e32 v33, 0x3f5db3d7, v55
	v_add_u32_e32 v34, 0x800, v88
	ds_write2_b64 v34, v[51:52], v[47:48] offset0:122 offset1:185
	ds_write_b64 v88, v[32:33] offset:4032
	s_waitcnt lgkmcnt(0)
	; wave barrier
	s_waitcnt lgkmcnt(0)
	global_load_dwordx4 v[32:35], v49, s[4:5] offset:1456
	v_lshlrev_b32_e32 v40, 4, v53
	global_load_dwordx4 v[36:39], v36, s[4:5] offset:1456
	s_nop 0
	global_load_dwordx4 v[40:43], v40, s[4:5] offset:1456
	ds_read2_b64 v[51:54], v58 offset0:122 offset1:185
	ds_read2_b64 v[44:47], v83 offset0:126 offset1:189
	;; [unrolled: 1-line block ×3, first 2 shown]
	s_waitcnt vmcnt(2) lgkmcnt(2)
	v_mul_f32_e32 v48, v52, v35
	v_fma_f32 v55, v51, v34, -v48
	v_mul_f32_e32 v48, v51, v35
	s_waitcnt vmcnt(1)
	v_mul_f32_e32 v49, v54, v39
	v_mul_f32_e32 v57, v53, v39
	v_fmac_f32_e32 v48, v52, v34
	v_fma_f32 v56, v53, v38, -v49
	v_fmac_f32_e32 v57, v54, v38
	s_waitcnt lgkmcnt(0)
	v_mul_f32_e32 v49, v90, v37
	ds_read2_b64 v[51:54], v83 offset1:63
	v_fma_f32 v59, v89, v36, -v49
	s_waitcnt vmcnt(0)
	v_mul_f32_e32 v49, v92, v41
	v_fma_f32 v61, v91, v40, -v49
	v_mul_f32_e32 v49, v47, v33
	v_fma_f32 v82, v46, v32, -v49
	v_mul_f32_e32 v49, v46, v33
	v_fmac_f32_e32 v49, v47, v32
	s_waitcnt lgkmcnt(0)
	v_add_f32_e32 v47, v52, v49
	v_mul_f32_e32 v60, v89, v37
	v_add_f32_e32 v46, v51, v82
	v_add_f32_e32 v47, v47, v48
	v_sub_f32_e32 v89, v49, v48
	v_add_f32_e32 v49, v49, v48
	v_add_f32_e32 v48, v82, v55
	;; [unrolled: 1-line block ×3, first 2 shown]
	v_fma_f32 v48, -0.5, v48, v51
	v_fma_f32 v49, -0.5, v49, v52
	v_sub_f32_e32 v55, v82, v55
	v_mov_b32_e32 v51, v48
	v_mov_b32_e32 v52, v49
	v_fmac_f32_e32 v48, 0xbf5db3d7, v89
	v_fmac_f32_e32 v49, 0x3f5db3d7, v55
	ds_write_b64 v83, v[48:49] offset:3024
	ds_read_b64 v[48:49], v83 offset:4032
	v_fmac_f32_e32 v60, v90, v36
	v_fmac_f32_e32 v51, 0x3f5db3d7, v89
	;; [unrolled: 1-line block ×3, first 2 shown]
	ds_write_b64 v83, v[51:52] offset:1512
	v_add_f32_e32 v51, v53, v59
	v_add_f32_e32 v52, v54, v60
	;; [unrolled: 1-line block ×4, first 2 shown]
	ds_write2_b64 v83, v[46:47], v[51:52] offset1:63
	s_waitcnt lgkmcnt(2)
	v_mul_f32_e32 v46, v49, v43
	v_fma_f32 v47, v48, v42, -v46
	v_add_f32_e32 v46, v59, v56
	v_fma_f32 v53, -0.5, v46, v53
	v_mul_f32_e32 v55, v48, v43
	v_sub_f32_e32 v46, v60, v57
	v_mov_b32_e32 v48, v53
	v_fmac_f32_e32 v48, 0x3f5db3d7, v46
	v_fmac_f32_e32 v53, 0xbf5db3d7, v46
	v_add_f32_e32 v46, v60, v57
	v_fmac_f32_e32 v54, -0.5, v46
	v_fmac_f32_e32 v55, v49, v42
	v_sub_f32_e32 v46, v59, v56
	v_mov_b32_e32 v49, v54
	v_mul_f32_e32 v81, v91, v41
	v_fmac_f32_e32 v49, 0xbf5db3d7, v46
	v_fmac_f32_e32 v54, 0x3f5db3d7, v46
	v_add_f32_e32 v46, v61, v47
	v_fmac_f32_e32 v81, v92, v40
	v_add_f32_e32 v51, v44, v61
	v_fma_f32 v44, -0.5, v46, v44
	v_sub_f32_e32 v52, v81, v55
	ds_write_b64 v83, v[53:54] offset:3528
	v_mov_b32_e32 v46, v44
	v_add_f32_e32 v53, v81, v55
	v_fmac_f32_e32 v46, 0x3f5db3d7, v52
	v_fmac_f32_e32 v44, 0xbf5db3d7, v52
	v_add_f32_e32 v52, v45, v81
	v_mov_b32_e32 v54, s15
	v_fmac_f32_e32 v45, -0.5, v53
	v_add_f32_e32 v51, v51, v47
	v_add_f32_e32 v52, v52, v55
	v_addc_co_u32_e64 v54, vcc, 0, v54, s[2:3]
	v_sub_f32_e32 v53, v61, v47
	v_mov_b32_e32 v47, v45
	s_movk_i32 s2, 0x1000
	v_fmac_f32_e32 v47, 0xbf5db3d7, v53
	v_fmac_f32_e32 v45, 0x3f5db3d7, v53
	ds_write_b64 v83, v[51:52] offset:1008
	ds_write2_b64 v50, v[48:49], v[46:47] offset0:124 offset1:187
	ds_write_b64 v83, v[44:45] offset:4032
	v_add_co_u32_e32 v48, vcc, s2, v62
	v_addc_co_u32_e32 v49, vcc, 0, v54, vcc
	s_waitcnt lgkmcnt(0)
	; wave barrier
	s_waitcnt lgkmcnt(0)
	global_load_dwordx2 v[55:56], v[48:49], off offset:440
	s_movk_i32 s2, 0x11b8
	v_add_co_u32_e32 v48, vcc, s2, v62
	v_addc_co_u32_e32 v49, vcc, 0, v54, vcc
	global_load_dwordx2 v[59:60], v[48:49], off offset:648
	global_load_dwordx2 v[81:82], v[48:49], off offset:1296
	;; [unrolled: 1-line block ×6, first 2 shown]
	ds_read2_b64 v[51:54], v83 offset1:81
	s_waitcnt vmcnt(6) lgkmcnt(0)
	v_mul_f32_e32 v57, v52, v56
	v_mul_f32_e32 v90, v51, v56
	v_fma_f32 v89, v51, v55, -v57
	v_fmac_f32_e32 v90, v52, v55
	s_waitcnt vmcnt(5)
	v_mul_f32_e32 v51, v54, v60
	v_mul_f32_e32 v52, v53, v60
	v_fma_f32 v51, v53, v59, -v51
	v_fmac_f32_e32 v52, v54, v59
	ds_write2_b64 v83, v[89:90], v[51:52] offset1:81
	ds_read2_b64 v[51:54], v83 offset0:162 offset1:243
	ds_read2_b64 v[89:92], v58 offset0:68 offset1:149
	s_waitcnt vmcnt(4) lgkmcnt(1)
	v_mul_f32_e32 v55, v52, v82
	v_mul_f32_e32 v56, v51, v82
	v_fma_f32 v55, v51, v81, -v55
	v_fmac_f32_e32 v56, v52, v81
	ds_read_b64 v[81:82], v83 offset:3888
	s_waitcnt vmcnt(3)
	v_mul_f32_e32 v51, v54, v94
	v_mul_f32_e32 v52, v53, v94
	v_fma_f32 v51, v53, v93, -v51
	v_fmac_f32_e32 v52, v54, v93
	s_waitcnt vmcnt(2) lgkmcnt(1)
	v_mul_f32_e32 v53, v90, v96
	v_mul_f32_e32 v54, v89, v96
	s_waitcnt vmcnt(1)
	v_mul_f32_e32 v57, v92, v98
	v_mul_f32_e32 v60, v91, v98
	v_fma_f32 v53, v89, v95, -v53
	v_fmac_f32_e32 v54, v90, v95
	v_fma_f32 v59, v91, v97, -v57
	v_fmac_f32_e32 v60, v92, v97
	ds_write2_b64 v83, v[55:56], v[51:52] offset0:162 offset1:243
	ds_write2_b64 v58, v[53:54], v[59:60] offset0:68 offset1:149
	s_waitcnt vmcnt(0) lgkmcnt(2)
	v_mul_f32_e32 v51, v82, v100
	v_mul_f32_e32 v52, v81, v100
	v_fma_f32 v51, v81, v99, -v51
	v_fmac_f32_e32 v52, v82, v99
	ds_write_b64 v83, v[51:52] offset:3888
	s_and_saveexec_b64 s[2:3], s[0:1]
	s_cbranch_execz .LBB0_9
; %bb.8:
	global_load_dwordx2 v[55:56], v[48:49], off offset:504
	global_load_dwordx2 v[59:60], v[48:49], off offset:1152
	;; [unrolled: 1-line block ×6, first 2 shown]
	v_add_co_u32_e32 v48, vcc, 0x1000, v48
	v_addc_co_u32_e32 v49, vcc, 0, v49, vcc
	global_load_dwordx2 v[48:49], v[48:49], off offset:296
	ds_read2_b64 v[51:54], v83 offset0:63 offset1:144
	ds_read2_b64 v[89:92], v50 offset0:97 offset1:178
	ds_read2_b64 v[93:96], v58 offset0:131 offset1:212
	ds_read_b64 v[103:104], v83 offset:4392
	s_waitcnt vmcnt(6) lgkmcnt(3)
	v_mul_f32_e32 v105, v52, v56
	v_mul_f32_e32 v57, v51, v56
	s_waitcnt vmcnt(5)
	v_mul_f32_e32 v107, v54, v60
	v_mul_f32_e32 v61, v53, v60
	s_waitcnt vmcnt(4) lgkmcnt(2)
	v_mul_f32_e32 v108, v90, v82
	v_mul_f32_e32 v106, v89, v82
	s_waitcnt vmcnt(3)
	v_mul_f32_e32 v109, v92, v98
	v_mul_f32_e32 v82, v91, v98
	;; [unrolled: 6-line block ×3, first 2 shown]
	v_fma_f32 v56, v51, v55, -v105
	v_fmac_f32_e32 v57, v52, v55
	v_fma_f32 v60, v53, v59, -v107
	v_fmac_f32_e32 v61, v54, v59
	;; [unrolled: 2-line block ×6, first 2 shown]
	ds_write2_b64 v83, v[56:57], v[60:61] offset0:63 offset1:144
	ds_write2_b64 v50, v[105:106], v[81:82] offset0:97 offset1:178
	;; [unrolled: 1-line block ×3, first 2 shown]
	s_waitcnt vmcnt(0) lgkmcnt(3)
	v_mul_f32_e32 v51, v104, v49
	v_mul_f32_e32 v50, v103, v49
	v_fma_f32 v49, v103, v48, -v51
	v_fmac_f32_e32 v50, v104, v48
	ds_write_b64 v83, v[49:50] offset:4392
.LBB0_9:
	s_or_b64 exec, exec, s[2:3]
	s_waitcnt lgkmcnt(0)
	; wave barrier
	s_waitcnt lgkmcnt(0)
	ds_read2_b64 v[50:53], v83 offset1:81
	ds_read2_b64 v[54:57], v83 offset0:162 offset1:243
	ds_read2_b64 v[58:61], v58 offset0:68 offset1:149
	ds_read_b64 v[81:82], v83 offset:3888
	s_and_saveexec_b64 s[2:3], s[0:1]
	s_cbranch_execz .LBB0_11
; %bb.10:
	ds_read2_b64 v[46:49], v83 offset0:63 offset1:144
	v_add_u32_e32 v16, 0x400, v83
	v_add_u32_e32 v20, 0x800, v83
	ds_read2_b64 v[16:19], v16 offset0:97 offset1:178
	ds_read2_b64 v[20:23], v20 offset0:131 offset1:212
	ds_read_b64 v[79:80], v83 offset:4392
	s_waitcnt lgkmcnt(3)
	v_mov_b32_e32 v44, v48
	v_mov_b32_e32 v45, v49
.LBB0_11:
	s_or_b64 exec, exec, s[2:3]
	s_waitcnt lgkmcnt(0)
	v_add_f32_e32 v48, v52, v81
	v_sub_f32_e32 v52, v52, v81
	v_add_f32_e32 v81, v54, v60
	v_add_f32_e32 v49, v53, v82
	v_sub_f32_e32 v53, v53, v82
	v_add_f32_e32 v82, v55, v61
	v_sub_f32_e32 v54, v54, v60
	;; [unrolled: 2-line block ×6, first 2 shown]
	v_sub_f32_e32 v91, v48, v60
	v_add_f32_e32 v48, v56, v54
	v_add_f32_e32 v58, v60, v58
	v_sub_f32_e32 v90, v82, v49
	v_sub_f32_e32 v92, v49, v61
	v_add_f32_e32 v49, v57, v55
	v_sub_f32_e32 v93, v56, v54
	v_sub_f32_e32 v56, v52, v56
	;; [unrolled: 1-line block ×3, first 2 shown]
	v_add_f32_e32 v59, v61, v59
	v_add_f32_e32 v52, v48, v52
	;; [unrolled: 1-line block ×3, first 2 shown]
	v_sub_f32_e32 v81, v60, v81
	v_sub_f32_e32 v82, v61, v82
	;; [unrolled: 1-line block ×5, first 2 shown]
	v_add_f32_e32 v53, v49, v53
	v_add_f32_e32 v49, v51, v59
	v_mov_b32_e32 v95, v48
	v_mul_f32_e32 v50, 0x3f4a47b2, v91
	v_mul_f32_e32 v51, 0x3f4a47b2, v92
	;; [unrolled: 1-line block ×6, first 2 shown]
	s_mov_b32 s4, 0xbf5ff5aa
	v_fmac_f32_e32 v95, 0xbf955555, v58
	v_mov_b32_e32 v58, v49
	s_mov_b32 s5, 0x3f3bfb3b
	s_mov_b32 s12, 0xbf3bfb3b
	v_mul_f32_e32 v93, 0xbf5ff5aa, v54
	v_mul_f32_e32 v94, 0xbf5ff5aa, v55
	v_fmac_f32_e32 v58, 0xbf955555, v59
	v_fma_f32 v59, v89, s5, -v60
	v_fma_f32 v60, v90, s5, -v61
	;; [unrolled: 1-line block ×3, first 2 shown]
	v_fmac_f32_e32 v50, 0x3d64c772, v81
	v_fma_f32 v81, v90, s12, -v51
	v_fmac_f32_e32 v51, 0x3d64c772, v82
	v_fma_f32 v82, v54, s4, -v91
	;; [unrolled: 2-line block ×3, first 2 shown]
	v_fmac_f32_e32 v92, 0xbeae86e6, v57
	s_mov_b32 s13, 0x3eae86e6
	v_fma_f32 v90, v56, s13, -v93
	v_fma_f32 v93, v57, s13, -v94
	v_add_f32_e32 v94, v50, v95
	v_add_f32_e32 v96, v51, v58
	v_fmac_f32_e32 v91, 0xbee1c552, v52
	v_fmac_f32_e32 v92, 0xbee1c552, v53
	v_add_f32_e32 v56, v59, v95
	v_add_f32_e32 v57, v60, v58
	;; [unrolled: 1-line block ×4, first 2 shown]
	v_fmac_f32_e32 v82, 0xbee1c552, v52
	v_fmac_f32_e32 v89, 0xbee1c552, v53
	;; [unrolled: 1-line block ×4, first 2 shown]
	v_add_f32_e32 v50, v94, v92
	v_sub_f32_e32 v51, v96, v91
	v_add_f32_e32 v52, v93, v59
	v_sub_f32_e32 v53, v60, v90
	v_sub_f32_e32 v54, v56, v89
	v_add_f32_e32 v55, v82, v57
	v_add_f32_e32 v56, v89, v56
	v_sub_f32_e32 v57, v57, v82
	v_sub_f32_e32 v58, v59, v93
	v_add_f32_e32 v59, v90, v60
	v_sub_f32_e32 v60, v94, v92
	v_add_f32_e32 v61, v91, v96
	s_waitcnt lgkmcnt(0)
	; wave barrier
	ds_write2_b64 v86, v[48:49], v[50:51] offset1:1
	ds_write2_b64 v86, v[52:53], v[54:55] offset0:2 offset1:3
	ds_write2_b64 v86, v[56:57], v[58:59] offset0:4 offset1:5
	ds_write_b64 v86, v[60:61] offset:48
	s_and_saveexec_b64 s[2:3], s[0:1]
	s_cbranch_execz .LBB0_13
; %bb.12:
	v_sub_f32_e32 v50, v44, v79
	v_sub_f32_e32 v48, v20, v18
	;; [unrolled: 1-line block ×5, first 2 shown]
	v_add_f32_e32 v48, v48, v52
	v_add_f32_e32 v55, v48, v50
	;; [unrolled: 1-line block ×4, first 2 shown]
	v_mul_f32_e32 v53, 0x3f08b237, v49
	v_sub_f32_e32 v49, v56, v48
	v_mul_f32_e32 v57, 0x3f4a47b2, v49
	v_add_f32_e32 v58, v23, v17
	v_sub_f32_e32 v49, v48, v58
	v_mov_b32_e32 v60, v57
	v_mul_f32_e32 v59, 0x3d64c772, v49
	v_fmac_f32_e32 v60, 0x3d64c772, v49
	v_add_f32_e32 v49, v58, v56
	v_add_f32_e32 v48, v48, v49
	;; [unrolled: 1-line block ×5, first 2 shown]
	v_sub_f32_e32 v20, v44, v18
	v_mov_b32_e32 v61, v47
	v_mul_f32_e32 v20, 0x3f4a47b2, v20
	v_add_f32_e32 v16, v22, v16
	v_fmac_f32_e32 v61, 0xbf955555, v48
	v_sub_f32_e32 v22, v18, v16
	v_mov_b32_e32 v48, v20
	v_mul_f32_e32 v79, 0x3d64c772, v22
	v_fmac_f32_e32 v48, 0x3d64c772, v22
	v_add_f32_e32 v22, v16, v44
	v_add_f32_e32 v18, v18, v22
	;; [unrolled: 1-line block ×3, first 2 shown]
	v_mov_b32_e32 v22, v46
	v_sub_f32_e32 v19, v21, v19
	v_sub_f32_e32 v23, v17, v23
	v_fmac_f32_e32 v22, 0xbf955555, v18
	v_sub_f32_e32 v18, v45, v80
	v_sub_f32_e32 v17, v19, v23
	;; [unrolled: 1-line block ×3, first 2 shown]
	v_mul_f32_e32 v45, 0x3f08b237, v17
	v_add_f32_e32 v17, v19, v23
	v_sub_f32_e32 v19, v52, v50
	v_sub_f32_e32 v44, v16, v44
	v_mov_b32_e32 v54, v53
	v_add_f32_e32 v82, v17, v18
	v_mul_f32_e32 v17, 0xbf5ff5aa, v19
	v_fma_f32 v16, v44, s12, -v20
	v_sub_f32_e32 v18, v23, v18
	v_fmac_f32_e32 v54, 0xbeae86e6, v51
	v_mov_b32_e32 v80, v45
	v_fma_f32 v50, v51, s13, -v17
	v_sub_f32_e32 v51, v58, v56
	v_add_f32_e32 v56, v16, v22
	v_mul_f32_e32 v16, 0xbf5ff5aa, v18
	v_fmac_f32_e32 v80, 0xbeae86e6, v21
	v_fma_f32 v17, v51, s12, -v57
	v_fma_f32 v57, v21, s13, -v16
	;; [unrolled: 1-line block ×6, first 2 shown]
	v_fmac_f32_e32 v54, 0xbee1c552, v55
	v_add_f32_e32 v60, v60, v61
	v_add_f32_e32 v81, v48, v22
	v_fmac_f32_e32 v80, 0xbee1c552, v82
	v_fmac_f32_e32 v50, 0xbee1c552, v55
	v_add_f32_e32 v52, v17, v61
	v_add_f32_e32 v20, v20, v61
	v_fmac_f32_e32 v21, 0xbee1c552, v55
	;; [unrolled: 4-line block ×3, first 2 shown]
	v_sub_f32_e32 v19, v20, v21
	v_add_f32_e32 v18, v23, v22
	v_add_f32_e32 v21, v21, v20
	v_sub_f32_e32 v20, v22, v23
	v_sub_f32_e32 v23, v52, v50
	;; [unrolled: 1-line block ×3, first 2 shown]
	v_add_f32_e32 v44, v81, v80
	v_lshlrev_b32_e32 v50, 3, v85
	v_add_f32_e32 v49, v54, v60
	v_sub_f32_e32 v48, v81, v80
	v_sub_f32_e32 v16, v56, v57
	v_add_f32_e32 v22, v57, v56
	ds_write2_b64 v50, v[46:47], v[44:45] offset1:1
	ds_write2_b64 v50, v[22:23], v[20:21] offset0:2 offset1:3
	ds_write2_b64 v50, v[18:19], v[16:17] offset0:4 offset1:5
	ds_write_b64 v50, v[48:49] offset:48
.LBB0_13:
	s_or_b64 exec, exec, s[2:3]
	s_waitcnt lgkmcnt(0)
	; wave barrier
	s_waitcnt lgkmcnt(0)
	ds_read2_b64 v[20:23], v83 offset1:63
	ds_read2_b64 v[44:47], v83 offset0:126 offset1:189
	v_add_u32_e32 v18, 0x400, v83
	ds_read2_b64 v[48:51], v18 offset0:124 offset1:187
	v_add_u32_e32 v19, 0x800, v83
	ds_read2_b64 v[52:55], v19 offset0:122 offset1:185
	ds_read_b64 v[56:57], v83 offset:4032
	s_waitcnt lgkmcnt(4)
	v_mul_f32_e32 v58, v13, v23
	v_mul_f32_e32 v13, v13, v22
	v_fmac_f32_e32 v58, v12, v22
	v_fma_f32 v12, v12, v23, -v13
	s_waitcnt lgkmcnt(3)
	v_mul_f32_e32 v13, v15, v45
	v_fmac_f32_e32 v13, v14, v44
	v_mul_f32_e32 v15, v15, v44
	s_waitcnt lgkmcnt(2)
	v_mul_f32_e32 v44, v5, v51
	v_mul_f32_e32 v5, v5, v50
	v_fma_f32 v14, v14, v45, -v15
	v_fmac_f32_e32 v44, v4, v50
	v_fma_f32 v45, v4, v51, -v5
	s_waitcnt lgkmcnt(1)
	v_mul_f32_e32 v4, v7, v53
	v_mul_f32_e32 v5, v7, v52
	v_fmac_f32_e32 v4, v6, v52
	v_fma_f32 v5, v6, v53, -v5
	v_mul_f32_e32 v6, v1, v55
	v_mul_f32_e32 v1, v1, v54
	v_fmac_f32_e32 v6, v0, v54
	v_fma_f32 v0, v0, v55, -v1
	s_waitcnt lgkmcnt(0)
	v_mul_f32_e32 v1, v3, v57
	v_mul_f32_e32 v3, v3, v56
	;; [unrolled: 1-line block ×4, first 2 shown]
	v_fmac_f32_e32 v1, v2, v56
	v_fma_f32 v2, v2, v57, -v3
	v_fmac_f32_e32 v15, v8, v46
	v_fma_f32 v8, v8, v47, -v9
	v_mul_f32_e32 v9, v11, v48
	v_add_f32_e32 v47, v12, v2
	v_sub_f32_e32 v12, v12, v2
	v_mul_f32_e32 v22, v11, v49
	v_fma_f32 v23, v10, v49, -v9
	v_add_f32_e32 v49, v14, v0
	v_sub_f32_e32 v14, v14, v0
	v_mul_f32_e32 v2, 0x3f248dbb, v12
	v_fmac_f32_e32 v22, v10, v48
	v_sub_f32_e32 v52, v58, v1
	v_sub_f32_e32 v53, v8, v5
	v_fmac_f32_e32 v2, 0x3f7c1c5c, v14
	v_mad_u64_u32 v[16:17], s[2:3], s10, v68, 0
	v_add_f32_e32 v48, v13, v6
	v_sub_f32_e32 v13, v13, v6
	v_mul_f32_e32 v3, 0x3f248dbb, v52
	v_fmac_f32_e32 v2, 0x3f5db3d7, v53
	v_sub_f32_e32 v54, v22, v44
	v_sub_f32_e32 v55, v23, v45
	v_add_f32_e32 v50, v15, v4
	v_sub_f32_e32 v15, v15, v4
	v_fmac_f32_e32 v3, 0x3f7c1c5c, v13
	v_fmac_f32_e32 v2, 0x3eaf1d44, v55
	s_mov_b32 s2, 0xbf248dbb
	v_mul_f32_e32 v7, 0xbf248dbb, v54
	v_mul_f32_e32 v6, 0xbf248dbb, v55
	v_add_f32_e32 v9, v55, v12
	v_mul_f32_e32 v55, 0x3f7c1c5c, v55
	v_add_f32_e32 v46, v58, v1
	v_fmac_f32_e32 v3, 0x3f5db3d7, v15
	v_fmac_f32_e32 v7, 0x3f7c1c5c, v52
	v_fma_f32 v55, v14, s2, -v55
	v_add_f32_e32 v51, v8, v5
	v_fmac_f32_e32 v3, 0x3eaf1d44, v54
	v_fmac_f32_e32 v7, 0xbf5db3d7, v15
	v_add_f32_e32 v8, v54, v52
	v_add_f32_e32 v60, v48, v46
	;; [unrolled: 1-line block ×3, first 2 shown]
	v_mul_f32_e32 v54, 0x3f7c1c5c, v54
	v_fmac_f32_e32 v55, 0x3f5db3d7, v53
	v_fmac_f32_e32 v6, 0x3f7c1c5c, v12
	;; [unrolled: 1-line block ×3, first 2 shown]
	v_sub_f32_e32 v10, v8, v13
	v_fma_f32 v54, v13, s2, -v54
	v_fmac_f32_e32 v55, 0x3eaf1d44, v12
	v_add_f32_e32 v12, v50, v60
	v_add_f32_e32 v13, v51, v61
	;; [unrolled: 1-line block ×4, first 2 shown]
	v_mov_b32_e32 v0, v20
	v_mov_b32_e32 v1, v21
	v_add_f32_e32 v56, v22, v44
	v_add_f32_e32 v57, v23, v45
	v_mov_b32_e32 v4, v20
	v_mov_b32_e32 v5, v21
	v_add_f32_e32 v12, v44, v12
	v_add_f32_e32 v13, v45, v13
	v_fmac_f32_e32 v0, 0x3f441b7d, v46
	v_fmac_f32_e32 v1, 0x3f441b7d, v47
	v_fmac_f32_e32 v4, 0x3f441b7d, v56
	v_fmac_f32_e32 v5, 0x3f441b7d, v57
	v_sub_f32_e32 v11, v9, v14
	v_add_f32_e32 v8, v50, v20
	v_add_f32_e32 v9, v51, v21
	;; [unrolled: 1-line block ×4, first 2 shown]
	v_fmac_f32_e32 v20, 0x3f441b7d, v48
	v_fmac_f32_e32 v21, 0x3f441b7d, v49
	;; [unrolled: 1-line block ×8, first 2 shown]
	v_fmac_f32_e32 v0, -0.5, v50
	v_fmac_f32_e32 v1, -0.5, v51
	v_fmac_f32_e32 v6, 0xbf5db3d7, v53
	v_fmac_f32_e32 v4, -0.5, v50
	v_fmac_f32_e32 v5, -0.5, v51
	v_add_f32_e32 v79, v56, v60
	v_add_f32_e32 v80, v57, v61
	v_fmac_f32_e32 v54, 0x3f5db3d7, v15
	v_fmac_f32_e32 v20, -0.5, v50
	v_fmac_f32_e32 v21, -0.5, v51
	v_fmac_f32_e32 v0, 0xbf708fb2, v56
	v_fmac_f32_e32 v1, 0xbf708fb2, v57
	;; [unrolled: 1-line block ×5, first 2 shown]
	v_fmac_f32_e32 v8, -0.5, v79
	v_fmac_f32_e32 v9, -0.5, v80
	v_fmac_f32_e32 v54, 0x3eaf1d44, v52
	v_fmac_f32_e32 v20, 0xbf708fb2, v46
	;; [unrolled: 1-line block ×3, first 2 shown]
	v_sub_f32_e32 v0, v0, v2
	v_add_f32_e32 v1, v3, v1
	v_sub_f32_e32 v4, v4, v6
	v_add_f32_e32 v5, v7, v5
	v_mul_f32_e32 v58, 0x3f5db3d7, v10
	v_mul_f32_e32 v59, 0x3f5db3d7, v11
	v_fmac_f32_e32 v8, 0xbf5db3d7, v11
	v_fmac_f32_e32 v9, 0x3f5db3d7, v10
	v_sub_f32_e32 v14, v20, v55
	v_add_f32_e32 v15, v54, v21
	v_fma_f32 v2, 2.0, v2, v0
	v_fma_f32 v3, -2.0, v3, v1
	v_fma_f32 v6, 2.0, v6, v4
	v_fma_f32 v7, -2.0, v7, v5
	;; [unrolled: 2-line block ×4, first 2 shown]
	s_waitcnt lgkmcnt(0)
	; wave barrier
	ds_write2_b64 v87, v[12:13], v[0:1] offset1:7
	ds_write2_b64 v87, v[4:5], v[8:9] offset0:14 offset1:21
	ds_write2_b64 v87, v[14:15], v[20:21] offset0:28 offset1:35
	;; [unrolled: 1-line block ×3, first 2 shown]
	ds_write_b64 v87, v[2:3] offset:448
	s_waitcnt lgkmcnt(0)
	; wave barrier
	s_waitcnt lgkmcnt(0)
	ds_read2_b64 v[0:3], v83 offset0:126 offset1:189
	ds_read2_b64 v[4:7], v83 offset1:63
	ds_read2_b64 v[8:11], v19 offset0:122 offset1:185
	ds_read2_b64 v[12:15], v18 offset0:124 offset1:187
	ds_read_b64 v[20:21], v83 offset:4032
	s_waitcnt lgkmcnt(4)
	v_mul_f32_e32 v22, v25, v3
	v_fmac_f32_e32 v22, v24, v2
	v_mul_f32_e32 v2, v25, v2
	v_fma_f32 v23, v24, v3, -v2
	s_waitcnt lgkmcnt(2)
	v_mul_f32_e32 v2, v27, v8
	v_mul_f32_e32 v44, v27, v9
	v_fma_f32 v9, v26, v9, -v2
	s_waitcnt lgkmcnt(1)
	v_mul_f32_e32 v2, v25, v12
	v_mul_f32_e32 v45, v25, v13
	v_fma_f32 v13, v24, v13, -v2
	v_mul_f32_e32 v2, v27, v10
	v_fmac_f32_e32 v44, v26, v8
	v_fmac_f32_e32 v45, v24, v12
	v_mul_f32_e32 v24, v27, v11
	v_fma_f32 v25, v26, v11, -v2
	v_mul_f32_e32 v2, v29, v14
	v_fmac_f32_e32 v24, v26, v10
	v_mul_f32_e32 v26, v29, v15
	v_fma_f32 v27, v28, v15, -v2
	s_waitcnt lgkmcnt(0)
	v_mul_f32_e32 v2, v31, v20
	v_add_f32_e32 v3, v22, v44
	v_fmac_f32_e32 v26, v28, v14
	v_mul_f32_e32 v28, v31, v21
	v_fma_f32 v21, v30, v21, -v2
	v_add_f32_e32 v2, v4, v22
	v_fma_f32 v4, -0.5, v3, v4
	v_sub_f32_e32 v3, v23, v9
	v_mov_b32_e32 v8, v4
	v_fmac_f32_e32 v8, 0xbf5db3d7, v3
	v_fmac_f32_e32 v4, 0x3f5db3d7, v3
	v_add_f32_e32 v3, v5, v23
	v_add_f32_e32 v3, v3, v9
	;; [unrolled: 1-line block ×3, first 2 shown]
	v_fma_f32 v5, -0.5, v9, v5
	v_sub_f32_e32 v10, v22, v44
	v_mov_b32_e32 v9, v5
	v_add_f32_e32 v11, v45, v24
	v_fmac_f32_e32 v9, 0x3f5db3d7, v10
	v_fmac_f32_e32 v5, 0xbf5db3d7, v10
	v_add_f32_e32 v10, v6, v45
	v_fma_f32 v6, -0.5, v11, v6
	v_sub_f32_e32 v11, v13, v25
	v_mov_b32_e32 v12, v6
	v_fmac_f32_e32 v12, 0xbf5db3d7, v11
	v_fmac_f32_e32 v6, 0x3f5db3d7, v11
	v_add_f32_e32 v11, v7, v13
	v_add_f32_e32 v13, v13, v25
	v_fmac_f32_e32 v28, v30, v20
	v_fmac_f32_e32 v7, -0.5, v13
	v_sub_f32_e32 v14, v45, v24
	v_mov_b32_e32 v13, v7
	v_add_f32_e32 v15, v26, v28
	v_fmac_f32_e32 v13, 0x3f5db3d7, v14
	v_fmac_f32_e32 v7, 0xbf5db3d7, v14
	v_add_f32_e32 v14, v0, v26
	v_fma_f32 v0, -0.5, v15, v0
	v_sub_f32_e32 v15, v27, v21
	v_mov_b32_e32 v20, v0
	v_fmac_f32_e32 v20, 0xbf5db3d7, v15
	v_fmac_f32_e32 v0, 0x3f5db3d7, v15
	v_add_f32_e32 v15, v1, v27
	v_add_f32_e32 v15, v15, v21
	;; [unrolled: 1-line block ×3, first 2 shown]
	v_fmac_f32_e32 v1, -0.5, v21
	v_add_f32_e32 v2, v2, v44
	v_sub_f32_e32 v22, v26, v28
	v_mov_b32_e32 v21, v1
	v_add_f32_e32 v10, v10, v24
	v_add_f32_e32 v11, v11, v25
	;; [unrolled: 1-line block ×3, first 2 shown]
	v_fmac_f32_e32 v21, 0x3f5db3d7, v22
	v_fmac_f32_e32 v1, 0xbf5db3d7, v22
	s_waitcnt lgkmcnt(0)
	; wave barrier
	ds_write2_b64 v83, v[2:3], v[8:9] offset1:63
	ds_write2_b64 v83, v[4:5], v[10:11] offset0:126 offset1:189
	ds_write2_b64 v18, v[12:13], v[6:7] offset0:124 offset1:187
	v_add_u32_e32 v2, 0x800, v88
	ds_write2_b64 v2, v[14:15], v[20:21] offset0:122 offset1:185
	ds_write_b64 v88, v[0:1] offset:4032
	s_waitcnt lgkmcnt(0)
	; wave barrier
	s_waitcnt lgkmcnt(0)
	ds_read2_b64 v[0:3], v83 offset0:126 offset1:189
	ds_read2_b64 v[4:7], v83 offset1:63
	ds_read2_b64 v[8:11], v19 offset0:122 offset1:185
	ds_read2_b64 v[12:15], v18 offset0:124 offset1:187
	ds_read_b64 v[20:21], v83 offset:4032
	s_waitcnt lgkmcnt(4)
	v_mul_f32_e32 v22, v33, v3
	v_fmac_f32_e32 v22, v32, v2
	v_mul_f32_e32 v2, v33, v2
	v_fma_f32 v23, v32, v3, -v2
	s_waitcnt lgkmcnt(2)
	v_mul_f32_e32 v2, v35, v8
	v_mul_f32_e32 v24, v35, v9
	v_fma_f32 v9, v34, v9, -v2
	s_waitcnt lgkmcnt(1)
	v_mul_f32_e32 v2, v37, v12
	v_mul_f32_e32 v25, v37, v13
	v_fma_f32 v13, v36, v13, -v2
	v_mul_f32_e32 v2, v39, v10
	v_fmac_f32_e32 v24, v34, v8
	v_fma_f32 v27, v38, v11, -v2
	v_mul_f32_e32 v2, v41, v14
	v_fma_f32 v29, v40, v15, -v2
	s_waitcnt lgkmcnt(0)
	v_mul_f32_e32 v2, v43, v20
	v_add_f32_e32 v3, v22, v24
	v_mul_f32_e32 v30, v43, v21
	v_fma_f32 v21, v42, v21, -v2
	v_add_f32_e32 v2, v4, v22
	v_fma_f32 v4, -0.5, v3, v4
	v_sub_f32_e32 v3, v23, v9
	v_mov_b32_e32 v8, v4
	v_fmac_f32_e32 v8, 0xbf5db3d7, v3
	v_fmac_f32_e32 v4, 0x3f5db3d7, v3
	v_add_f32_e32 v3, v5, v23
	v_mul_f32_e32 v26, v39, v11
	v_add_f32_e32 v3, v3, v9
	v_add_f32_e32 v9, v23, v9
	v_fmac_f32_e32 v25, v36, v12
	v_fmac_f32_e32 v26, v38, v10
	v_fma_f32 v5, -0.5, v9, v5
	v_sub_f32_e32 v10, v22, v24
	v_mov_b32_e32 v9, v5
	v_add_f32_e32 v11, v25, v26
	v_fmac_f32_e32 v9, 0x3f5db3d7, v10
	v_fmac_f32_e32 v5, 0xbf5db3d7, v10
	v_add_f32_e32 v10, v6, v25
	v_fma_f32 v6, -0.5, v11, v6
	v_sub_f32_e32 v11, v13, v27
	v_mov_b32_e32 v12, v6
	v_mul_f32_e32 v28, v41, v15
	v_fmac_f32_e32 v12, 0xbf5db3d7, v11
	v_fmac_f32_e32 v6, 0x3f5db3d7, v11
	v_add_f32_e32 v11, v7, v13
	v_add_f32_e32 v13, v13, v27
	v_fmac_f32_e32 v28, v40, v14
	v_fmac_f32_e32 v30, v42, v20
	v_fmac_f32_e32 v7, -0.5, v13
	v_sub_f32_e32 v14, v25, v26
	v_mov_b32_e32 v13, v7
	v_add_f32_e32 v15, v28, v30
	v_fmac_f32_e32 v13, 0x3f5db3d7, v14
	v_fmac_f32_e32 v7, 0xbf5db3d7, v14
	v_add_f32_e32 v14, v0, v28
	v_fma_f32 v0, -0.5, v15, v0
	v_sub_f32_e32 v15, v29, v21
	v_mov_b32_e32 v20, v0
	v_fmac_f32_e32 v20, 0xbf5db3d7, v15
	v_fmac_f32_e32 v0, 0x3f5db3d7, v15
	v_add_f32_e32 v15, v1, v29
	v_add_f32_e32 v15, v15, v21
	;; [unrolled: 1-line block ×3, first 2 shown]
	v_fmac_f32_e32 v1, -0.5, v21
	v_sub_f32_e32 v22, v28, v30
	v_add_f32_e32 v2, v2, v24
	v_mov_b32_e32 v21, v1
	v_fmac_f32_e32 v1, 0xbf5db3d7, v22
	v_add_f32_e32 v10, v10, v26
	v_add_f32_e32 v11, v11, v27
	;; [unrolled: 1-line block ×3, first 2 shown]
	v_fmac_f32_e32 v21, 0x3f5db3d7, v22
	ds_write_b64 v83, v[8:9] offset:1512
	ds_write_b64 v83, v[4:5] offset:3024
	ds_write2_b64 v83, v[2:3], v[10:11] offset1:63
	ds_write_b64 v83, v[6:7] offset:3528
	ds_write_b64 v83, v[14:15] offset:1008
	ds_write2_b64 v18, v[12:13], v[20:21] offset0:124 offset1:187
	ds_write_b64 v83, v[0:1] offset:4032
	s_waitcnt lgkmcnt(0)
	; wave barrier
	s_waitcnt lgkmcnt(0)
	ds_read2_b64 v[0:3], v83 offset1:81
	s_mov_b32 s2, 0x8eac7900
	s_mov_b32 s3, 0x3f5ce55c
	v_mad_u64_u32 v[7:8], s[4:5], s8, v84, 0
	s_waitcnt lgkmcnt(0)
	v_mul_f32_e32 v5, v78, v1
	v_fmac_f32_e32 v5, v77, v0
	v_cvt_f64_f32_e32 v[5:6], v5
	v_mul_f32_e32 v0, v78, v0
	v_fma_f32 v0, v77, v1, -v0
	v_cvt_f64_f32_e32 v[0:1], v0
	v_mul_f64 v[5:6], v[5:6], s[2:3]
	v_mov_b32_e32 v4, v17
	v_mul_f64 v[0:1], v[0:1], s[2:3]
	v_mad_u64_u32 v[9:10], s[4:5], s11, v68, v[4:5]
	v_mov_b32_e32 v4, v8
	v_mad_u64_u32 v[10:11], s[4:5], s9, v84, v[4:5]
	v_mov_b32_e32 v17, v9
	v_mul_f32_e32 v9, v76, v3
	v_fmac_f32_e32 v9, v75, v2
	v_mov_b32_e32 v8, v10
	v_cvt_f64_f32_e32 v[9:10], v9
	v_cvt_f32_f64_e32 v4, v[5:6]
	v_cvt_f32_f64_e32 v5, v[0:1]
	v_lshlrev_b64 v[0:1], 3, v[16:17]
	v_mov_b32_e32 v6, s7
	v_mul_f32_e32 v2, v76, v2
	v_add_co_u32_e32 v11, vcc, s6, v0
	v_fma_f32 v2, v75, v3, -v2
	v_addc_co_u32_e32 v12, vcc, v6, v1, vcc
	v_mul_f64 v[0:1], v[9:10], s[2:3]
	v_cvt_f64_f32_e32 v[2:3], v2
	v_lshlrev_b64 v[6:7], 3, v[7:8]
	s_mul_i32 s4, s9, 0x51
	v_add_co_u32_e32 v6, vcc, v11, v6
	v_mul_f64 v[8:9], v[2:3], s[2:3]
	v_addc_co_u32_e32 v7, vcc, v12, v7, vcc
	global_store_dwordx2 v[6:7], v[4:5], off
	v_cvt_f32_f64_e32 v4, v[0:1]
	ds_read2_b64 v[0:3], v83 offset0:162 offset1:243
	s_mul_hi_u32 s5, s8, 0x51
	s_add_i32 s5, s5, s4
	v_cvt_f32_f64_e32 v5, v[8:9]
	s_mul_i32 s4, s8, 0x51
	s_waitcnt lgkmcnt(0)
	v_mul_f32_e32 v8, v74, v1
	v_fmac_f32_e32 v8, v73, v0
	v_mul_f32_e32 v0, v74, v0
	v_fma_f32 v0, v73, v1, -v0
	v_cvt_f64_f32_e32 v[0:1], v0
	v_cvt_f64_f32_e32 v[8:9], v8
	s_lshl_b64 s[4:5], s[4:5], 3
	v_mov_b32_e32 v14, s5
	v_mul_f64 v[0:1], v[0:1], s[2:3]
	v_mul_f64 v[8:9], v[8:9], s[2:3]
	v_add_co_u32_e32 v6, vcc, s4, v6
	v_addc_co_u32_e32 v7, vcc, v7, v14, vcc
	global_store_dwordx2 v[6:7], v[4:5], off
	v_add_co_u32_e32 v6, vcc, s4, v6
	v_cvt_f32_f64_e32 v5, v[0:1]
	v_mul_f32_e32 v0, v72, v3
	v_fmac_f32_e32 v0, v71, v2
	v_cvt_f32_f64_e32 v4, v[8:9]
	v_cvt_f64_f32_e32 v[8:9], v0
	v_mul_f32_e32 v0, v72, v2
	v_fma_f32 v0, v71, v3, -v0
	v_cvt_f64_f32_e32 v[10:11], v0
	ds_read2_b64 v[0:3], v19 offset0:68 offset1:149
	v_mul_f64 v[8:9], v[8:9], s[2:3]
	v_addc_co_u32_e32 v7, vcc, v7, v14, vcc
	v_mul_f64 v[10:11], v[10:11], s[2:3]
	s_waitcnt lgkmcnt(0)
	v_mul_f32_e32 v12, v70, v1
	v_fmac_f32_e32 v12, v69, v0
	v_cvt_f64_f32_e32 v[12:13], v12
	v_mul_f32_e32 v0, v70, v0
	v_fma_f32 v0, v69, v1, -v0
	v_cvt_f64_f32_e32 v[0:1], v0
	global_store_dwordx2 v[6:7], v[4:5], off
	v_cvt_f32_f64_e32 v4, v[8:9]
	v_mul_f64 v[8:9], v[12:13], s[2:3]
	v_mul_f64 v[0:1], v[0:1], s[2:3]
	v_cvt_f32_f64_e32 v5, v[10:11]
	v_add_co_u32_e32 v6, vcc, s4, v6
	v_addc_co_u32_e32 v7, vcc, v7, v14, vcc
	global_store_dwordx2 v[6:7], v[4:5], off
	v_cvt_f32_f64_e32 v4, v[8:9]
	ds_read_b64 v[8:9], v83 offset:3888
	v_cvt_f32_f64_e32 v5, v[0:1]
	v_mul_f32_e32 v0, v67, v3
	v_fmac_f32_e32 v0, v66, v2
	v_mul_f32_e32 v2, v67, v2
	v_fma_f32 v2, v66, v3, -v2
	s_waitcnt lgkmcnt(0)
	v_mul_f32_e32 v10, v65, v9
	v_cvt_f64_f32_e32 v[0:1], v0
	v_cvt_f64_f32_e32 v[2:3], v2
	v_fmac_f32_e32 v10, v64, v8
	v_mul_f32_e32 v8, v65, v8
	v_fma_f32 v8, v64, v9, -v8
	v_cvt_f64_f32_e32 v[10:11], v10
	v_cvt_f64_f32_e32 v[8:9], v8
	v_add_co_u32_e32 v6, vcc, s4, v6
	v_mul_f64 v[0:1], v[0:1], s[2:3]
	v_mul_f64 v[2:3], v[2:3], s[2:3]
	v_addc_co_u32_e32 v7, vcc, v7, v14, vcc
	global_store_dwordx2 v[6:7], v[4:5], off
	v_mul_f64 v[4:5], v[10:11], s[2:3]
	v_mul_f64 v[8:9], v[8:9], s[2:3]
	v_cvt_f32_f64_e32 v0, v[0:1]
	v_cvt_f32_f64_e32 v1, v[2:3]
	v_add_co_u32_e32 v2, vcc, s4, v6
	v_addc_co_u32_e32 v3, vcc, v7, v14, vcc
	v_cvt_f32_f64_e32 v4, v[4:5]
	v_cvt_f32_f64_e32 v5, v[8:9]
	global_store_dwordx2 v[2:3], v[0:1], off
	v_add_co_u32_e32 v0, vcc, s4, v2
	v_addc_co_u32_e32 v1, vcc, v3, v14, vcc
	global_store_dwordx2 v[0:1], v[4:5], off
	s_and_b64 exec, exec, s[0:1]
	s_cbranch_execz .LBB0_15
; %bb.14:
	global_load_dwordx2 v[14:15], v[62:63], off offset:504
	global_load_dwordx2 v[16:17], v[62:63], off offset:1152
	;; [unrolled: 1-line block ×5, first 2 shown]
	ds_read2_b64 v[2:5], v83 offset0:63 offset1:144
	v_mov_b32_e32 v6, 0xfffff2c8
	v_mad_u64_u32 v[0:1], s[0:1], s8, v6, v[0:1]
	ds_read2_b64 v[6:9], v18 offset0:97 offset1:178
	ds_read2_b64 v[10:13], v19 offset0:131 offset1:212
	s_mul_i32 s6, s9, 0xfffff2c8
	s_sub_i32 s0, s6, s8
	v_mov_b32_e32 v32, s5
	v_add_u32_e32 v1, s0, v1
	v_add_co_u32_e32 v18, vcc, s4, v0
	v_addc_co_u32_e32 v19, vcc, v1, v32, vcc
	v_add_co_u32_e32 v26, vcc, s4, v18
	v_addc_co_u32_e32 v27, vcc, v19, v32, vcc
	;; [unrolled: 2-line block ×4, first 2 shown]
	s_movk_i32 s0, 0x1000
	s_waitcnt vmcnt(4) lgkmcnt(2)
	v_mul_f32_e32 v33, v3, v15
	v_mul_f32_e32 v15, v2, v15
	s_waitcnt vmcnt(3)
	v_mul_f32_e32 v34, v5, v17
	v_mul_f32_e32 v17, v4, v17
	v_fmac_f32_e32 v33, v2, v14
	v_fma_f32 v14, v14, v3, -v15
	s_waitcnt vmcnt(2) lgkmcnt(1)
	v_mul_f32_e32 v35, v7, v21
	v_mul_f32_e32 v21, v6, v21
	s_waitcnt vmcnt(1)
	v_mul_f32_e32 v36, v9, v23
	v_mul_f32_e32 v23, v8, v23
	v_fmac_f32_e32 v34, v4, v16
	v_fma_f32 v15, v16, v5, -v17
	v_cvt_f64_f32_e32 v[2:3], v33
	v_cvt_f64_f32_e32 v[4:5], v14
	s_waitcnt vmcnt(0) lgkmcnt(0)
	v_mul_f32_e32 v37, v11, v25
	v_mul_f32_e32 v25, v10, v25
	v_fmac_f32_e32 v35, v6, v20
	v_fma_f32 v16, v20, v7, -v21
	v_fmac_f32_e32 v36, v8, v22
	v_fma_f32 v20, v22, v9, -v23
	v_cvt_f64_f32_e32 v[6:7], v34
	v_cvt_f64_f32_e32 v[8:9], v15
	v_fmac_f32_e32 v37, v10, v24
	v_fma_f32 v24, v24, v11, -v25
	v_cvt_f64_f32_e32 v[10:11], v35
	v_cvt_f64_f32_e32 v[14:15], v16
	v_cvt_f64_f32_e32 v[16:17], v36
	v_cvt_f64_f32_e32 v[20:21], v20
	v_cvt_f64_f32_e32 v[22:23], v37
	v_cvt_f64_f32_e32 v[24:25], v24
	v_mul_f64 v[2:3], v[2:3], s[2:3]
	v_mul_f64 v[4:5], v[4:5], s[2:3]
	;; [unrolled: 1-line block ×10, first 2 shown]
	v_cvt_f32_f64_e32 v2, v[2:3]
	v_cvt_f32_f64_e32 v3, v[4:5]
	;; [unrolled: 1-line block ×10, first 2 shown]
	global_store_dwordx2 v[0:1], v[2:3], off
	global_store_dwordx2 v[18:19], v[4:5], off
	;; [unrolled: 1-line block ×5, first 2 shown]
	global_load_dwordx2 v[0:1], v[62:63], off offset:3744
	v_add_co_u32_e32 v4, vcc, s0, v62
	v_addc_co_u32_e32 v5, vcc, 0, v63, vcc
	s_waitcnt vmcnt(0)
	v_mul_f32_e32 v2, v13, v1
	v_mul_f32_e32 v1, v12, v1
	v_fmac_f32_e32 v2, v12, v0
	v_fma_f32 v3, v0, v13, -v1
	v_cvt_f64_f32_e32 v[0:1], v2
	v_cvt_f64_f32_e32 v[2:3], v3
	v_mul_f64 v[0:1], v[0:1], s[2:3]
	v_mul_f64 v[2:3], v[2:3], s[2:3]
	v_cvt_f32_f64_e32 v0, v[0:1]
	v_cvt_f32_f64_e32 v1, v[2:3]
	v_add_co_u32_e32 v2, vcc, s4, v30
	v_addc_co_u32_e32 v3, vcc, v31, v32, vcc
	global_store_dwordx2 v[2:3], v[0:1], off
	global_load_dwordx2 v[0:1], v[4:5], off offset:296
	ds_read_b64 v[4:5], v83 offset:4392
	v_add_co_u32_e32 v2, vcc, s4, v2
	v_addc_co_u32_e32 v3, vcc, v3, v32, vcc
	s_waitcnt vmcnt(0) lgkmcnt(0)
	v_mul_f32_e32 v6, v5, v1
	v_mul_f32_e32 v1, v4, v1
	v_fmac_f32_e32 v6, v4, v0
	v_fma_f32 v4, v0, v5, -v1
	v_cvt_f64_f32_e32 v[0:1], v6
	v_cvt_f64_f32_e32 v[4:5], v4
	v_mul_f64 v[0:1], v[0:1], s[2:3]
	v_mul_f64 v[4:5], v[4:5], s[2:3]
	v_cvt_f32_f64_e32 v0, v[0:1]
	v_cvt_f32_f64_e32 v1, v[4:5]
	global_store_dwordx2 v[2:3], v[0:1], off
.LBB0_15:
	s_endpgm
	.section	.rodata,"a",@progbits
	.p2align	6, 0x0
	.amdhsa_kernel bluestein_single_fwd_len567_dim1_sp_op_CI_CI
		.amdhsa_group_segment_fixed_size 4536
		.amdhsa_private_segment_fixed_size 0
		.amdhsa_kernarg_size 104
		.amdhsa_user_sgpr_count 6
		.amdhsa_user_sgpr_private_segment_buffer 1
		.amdhsa_user_sgpr_dispatch_ptr 0
		.amdhsa_user_sgpr_queue_ptr 0
		.amdhsa_user_sgpr_kernarg_segment_ptr 1
		.amdhsa_user_sgpr_dispatch_id 0
		.amdhsa_user_sgpr_flat_scratch_init 0
		.amdhsa_user_sgpr_private_segment_size 0
		.amdhsa_uses_dynamic_stack 0
		.amdhsa_system_sgpr_private_segment_wavefront_offset 0
		.amdhsa_system_sgpr_workgroup_id_x 1
		.amdhsa_system_sgpr_workgroup_id_y 0
		.amdhsa_system_sgpr_workgroup_id_z 0
		.amdhsa_system_sgpr_workgroup_info 0
		.amdhsa_system_vgpr_workitem_id 0
		.amdhsa_next_free_vgpr 112
		.amdhsa_next_free_sgpr 22
		.amdhsa_reserve_vcc 1
		.amdhsa_reserve_flat_scratch 0
		.amdhsa_float_round_mode_32 0
		.amdhsa_float_round_mode_16_64 0
		.amdhsa_float_denorm_mode_32 3
		.amdhsa_float_denorm_mode_16_64 3
		.amdhsa_dx10_clamp 1
		.amdhsa_ieee_mode 1
		.amdhsa_fp16_overflow 0
		.amdhsa_exception_fp_ieee_invalid_op 0
		.amdhsa_exception_fp_denorm_src 0
		.amdhsa_exception_fp_ieee_div_zero 0
		.amdhsa_exception_fp_ieee_overflow 0
		.amdhsa_exception_fp_ieee_underflow 0
		.amdhsa_exception_fp_ieee_inexact 0
		.amdhsa_exception_int_div_zero 0
	.end_amdhsa_kernel
	.text
.Lfunc_end0:
	.size	bluestein_single_fwd_len567_dim1_sp_op_CI_CI, .Lfunc_end0-bluestein_single_fwd_len567_dim1_sp_op_CI_CI
                                        ; -- End function
	.section	.AMDGPU.csdata,"",@progbits
; Kernel info:
; codeLenInByte = 9376
; NumSgprs: 26
; NumVgprs: 112
; ScratchSize: 0
; MemoryBound: 0
; FloatMode: 240
; IeeeMode: 1
; LDSByteSize: 4536 bytes/workgroup (compile time only)
; SGPRBlocks: 3
; VGPRBlocks: 27
; NumSGPRsForWavesPerEU: 26
; NumVGPRsForWavesPerEU: 112
; Occupancy: 2
; WaveLimiterHint : 1
; COMPUTE_PGM_RSRC2:SCRATCH_EN: 0
; COMPUTE_PGM_RSRC2:USER_SGPR: 6
; COMPUTE_PGM_RSRC2:TRAP_HANDLER: 0
; COMPUTE_PGM_RSRC2:TGID_X_EN: 1
; COMPUTE_PGM_RSRC2:TGID_Y_EN: 0
; COMPUTE_PGM_RSRC2:TGID_Z_EN: 0
; COMPUTE_PGM_RSRC2:TIDIG_COMP_CNT: 0
	.type	__hip_cuid_2588b6ed012ac327,@object ; @__hip_cuid_2588b6ed012ac327
	.section	.bss,"aw",@nobits
	.globl	__hip_cuid_2588b6ed012ac327
__hip_cuid_2588b6ed012ac327:
	.byte	0                               ; 0x0
	.size	__hip_cuid_2588b6ed012ac327, 1

	.ident	"AMD clang version 19.0.0git (https://github.com/RadeonOpenCompute/llvm-project roc-6.4.0 25133 c7fe45cf4b819c5991fe208aaa96edf142730f1d)"
	.section	".note.GNU-stack","",@progbits
	.addrsig
	.addrsig_sym __hip_cuid_2588b6ed012ac327
	.amdgpu_metadata
---
amdhsa.kernels:
  - .args:
      - .actual_access:  read_only
        .address_space:  global
        .offset:         0
        .size:           8
        .value_kind:     global_buffer
      - .actual_access:  read_only
        .address_space:  global
        .offset:         8
        .size:           8
        .value_kind:     global_buffer
      - .actual_access:  read_only
        .address_space:  global
        .offset:         16
        .size:           8
        .value_kind:     global_buffer
      - .actual_access:  read_only
        .address_space:  global
        .offset:         24
        .size:           8
        .value_kind:     global_buffer
      - .actual_access:  read_only
        .address_space:  global
        .offset:         32
        .size:           8
        .value_kind:     global_buffer
      - .offset:         40
        .size:           8
        .value_kind:     by_value
      - .address_space:  global
        .offset:         48
        .size:           8
        .value_kind:     global_buffer
      - .address_space:  global
        .offset:         56
        .size:           8
        .value_kind:     global_buffer
      - .address_space:  global
        .offset:         64
        .size:           8
        .value_kind:     global_buffer
      - .address_space:  global
        .offset:         72
        .size:           8
        .value_kind:     global_buffer
      - .offset:         80
        .size:           4
        .value_kind:     by_value
      - .address_space:  global
        .offset:         88
        .size:           8
        .value_kind:     global_buffer
      - .address_space:  global
        .offset:         96
        .size:           8
        .value_kind:     global_buffer
    .group_segment_fixed_size: 4536
    .kernarg_segment_align: 8
    .kernarg_segment_size: 104
    .language:       OpenCL C
    .language_version:
      - 2
      - 0
    .max_flat_workgroup_size: 63
    .name:           bluestein_single_fwd_len567_dim1_sp_op_CI_CI
    .private_segment_fixed_size: 0
    .sgpr_count:     26
    .sgpr_spill_count: 0
    .symbol:         bluestein_single_fwd_len567_dim1_sp_op_CI_CI.kd
    .uniform_work_group_size: 1
    .uses_dynamic_stack: false
    .vgpr_count:     112
    .vgpr_spill_count: 0
    .wavefront_size: 64
amdhsa.target:   amdgcn-amd-amdhsa--gfx906
amdhsa.version:
  - 1
  - 2
...

	.end_amdgpu_metadata
